;; amdgpu-corpus repo=zjin-lcf/HeCBench kind=compiled arch=gfx906 opt=O3
	.amdgcn_target "amdgcn-amd-amdhsa--gfx906"
	.amdhsa_code_object_version 6
	.text
	.protected	_Z15buildHashKernelPKfmfffffffffiiiiPjS1_ ; -- Begin function _Z15buildHashKernelPKfmfffffffffiiiiPjS1_
	.globl	_Z15buildHashKernelPKfmfffffffffiiiiPjS1_
	.p2align	8
	.type	_Z15buildHashKernelPKfmfffffffffiiiiPjS1_,@function
_Z15buildHashKernelPKfmfffffffffiiiiPjS1_: ; @_Z15buildHashKernelPKfmfffffffffiiiiPjS1_
; %bb.0:
	s_load_dword s7, s[4:5], 0x64
	s_load_dwordx4 s[0:3], s[4:5], 0x0
	s_waitcnt lgkmcnt(0)
	s_and_b32 s7, s7, 0xffff
	s_mul_i32 s6, s6, s7
	v_add_u32_e32 v0, s6, v0
	v_ashrrev_i32_e32 v1, 31, v0
	v_cmp_gt_u64_e32 vcc, s[2:3], v[0:1]
	s_and_saveexec_b64 s[6:7], vcc
	s_cbranch_execz .LBB0_14
; %bb.1:
	s_load_dwordx8 s[8:15], s[4:5], 0x28
	v_mov_b32_e32 v3, s1
	s_waitcnt lgkmcnt(0)
	v_mul_lo_u32 v0, v0, s14
	v_ashrrev_i32_e32 v1, 31, v0
	v_lshlrev_b64 v[1:2], 2, v[0:1]
	v_add_co_u32_e32 v1, vcc, s0, v1
	v_addc_co_u32_e32 v2, vcc, v3, v2, vcc
	global_load_dword v0, v[1:2], off
	s_load_dword s0, s[4:5], 0x10
	s_waitcnt vmcnt(0) lgkmcnt(0)
	v_subrev_f32_e32 v0, s0, v0
	v_div_scale_f32 v3, s[0:1], s8, s8, v0
	v_div_scale_f32 v4, vcc, v0, s8, v0
	v_rcp_f32_e32 v5, v3
	v_fma_f32 v6, -v3, v5, 1.0
	v_fmac_f32_e32 v5, v6, v5
	v_mul_f32_e32 v6, v4, v5
	v_fma_f32 v7, -v3, v6, v4
	v_fmac_f32_e32 v6, v7, v5
	v_fma_f32 v3, -v3, v6, v4
	v_div_fmas_f32 v3, v3, v5, v6
	v_div_fixup_f32 v0, v3, s8, v0
	v_floor_f32_e32 v0, v0
	v_cvt_i32_f32_e32 v0, v0
	v_cmp_lt_i32_e32 vcc, -1, v0
	v_cmp_gt_i32_e64 s[0:1], s13, v0
	s_and_b64 s[0:1], vcc, s[0:1]
	s_and_b64 exec, exec, s[0:1]
	s_cbranch_execz .LBB0_14
; %bb.2:
	global_load_dword v3, v[1:2], off offset:4
	s_load_dword s0, s[4:5], 0x18
	s_waitcnt vmcnt(0) lgkmcnt(0)
	v_subrev_f32_e32 v3, s0, v3
	v_div_scale_f32 v4, s[0:1], s9, s9, v3
	v_div_scale_f32 v5, vcc, v3, s9, v3
	v_rcp_f32_e32 v6, v4
	v_fma_f32 v7, -v4, v6, 1.0
	v_fmac_f32_e32 v6, v7, v6
	v_mul_f32_e32 v7, v5, v6
	v_fma_f32 v8, -v4, v7, v5
	v_fmac_f32_e32 v7, v8, v6
	v_fma_f32 v4, -v4, v7, v5
	v_div_fmas_f32 v4, v4, v6, v7
	v_div_fixup_f32 v3, v4, s9, v3
	v_floor_f32_e32 v3, v3
	v_cvt_i32_f32_e32 v3, v3
	v_cmp_lt_i32_e32 vcc, -1, v3
	v_cmp_gt_i32_e64 s[0:1], s12, v3
	s_and_b64 s[0:1], vcc, s[0:1]
	s_and_b64 exec, exec, s[0:1]
	s_cbranch_execz .LBB0_14
; %bb.3:
	global_load_dword v1, v[1:2], off offset:8
	s_load_dword s0, s[4:5], 0x20
	s_waitcnt vmcnt(0) lgkmcnt(0)
	v_subrev_f32_e32 v1, s0, v1
	v_div_scale_f32 v2, s[0:1], s10, s10, v1
	v_div_scale_f32 v4, vcc, v1, s10, v1
	v_rcp_f32_e32 v5, v2
	v_fma_f32 v6, -v2, v5, 1.0
	v_fmac_f32_e32 v5, v6, v5
	v_mul_f32_e32 v6, v4, v5
	v_fma_f32 v7, -v2, v6, v4
	v_fmac_f32_e32 v6, v7, v5
	v_fma_f32 v2, -v2, v6, v4
	v_div_fmas_f32 v2, v2, v5, v6
	v_div_fixup_f32 v1, v2, s10, v1
	v_floor_f32_e32 v1, v1
	v_cvt_i32_f32_e32 v1, v1
	v_cmp_lt_i32_e32 vcc, -1, v1
	v_cmp_gt_i32_e64 s[0:1], s11, v1
	s_and_b64 s[0:1], vcc, s[0:1]
	s_and_b64 exec, exec, s[0:1]
	s_cbranch_execz .LBB0_14
; %bb.4:
	v_mad_u64_u32 v[1:2], s[0:1], s12, v1, v[3:4]
	s_lshl_b32 s20, s2, 1
	s_mov_b32 s2, 0xc2b2ae35
	v_mad_u64_u32 v[0:1], s[0:1], v1, s13, v[0:1]
	s_mov_b32 s0, 0x85ebca6b
	v_cvt_f32_u32_e32 v4, s20
	v_xor_b32_sdwa v1, v0, v0 dst_sel:DWORD dst_unused:UNUSED_PAD src0_sel:WORD_1 src1_sel:DWORD
	v_mad_u64_u32 v[1:2], s[0:1], v1, s0, 0
	s_sub_u32 s3, 0, s20
	v_lshrrev_b64 v[5:6], 13, v[1:2]
	v_xor_b32_e32 v1, v5, v1
	v_mad_u64_u32 v[7:8], s[0:1], v1, s2, 0
	v_madmk_f32 v1, 0, 0x4f800000, v4
	v_rcp_f32_e32 v3, v1
	v_xor_b32_e32 v2, v6, v2
	v_mov_b32_e32 v1, v8
	v_mad_u64_u32 v[1:2], s[0:1], v2, s2, v[1:2]
	v_mul_f32_e32 v5, 0x5f7ffffc, v3
	v_mul_f32_e32 v2, 0x2f800000, v5
	v_mov_b32_e32 v8, v1
	v_trunc_f32_e32 v6, v2
	v_lshrrev_b64 v[2:3], 16, v[7:8]
	v_cvt_u32_f32_e32 v8, v6
	v_xor_b32_e32 v7, v2, v7
	v_madmk_f32 v2, v6, 0xcf800000, v5
	v_cvt_u32_f32_e32 v2, v2
	v_readfirstlane_b32 s6, v8
	s_subb_u32 s2, 0, 0
	s_mul_i32 s0, s3, s6
	v_readfirstlane_b32 s1, v2
	s_mul_hi_u32 s7, s3, s1
	s_add_i32 s0, s7, s0
	s_mul_i32 s7, s2, s1
	s_add_i32 s0, s0, s7
	s_mul_i32 s9, s3, s1
	s_mul_i32 s8, s1, s0
	s_mul_hi_u32 s10, s1, s9
	s_mul_hi_u32 s7, s1, s0
	s_add_u32 s8, s10, s8
	s_addc_u32 s7, 0, s7
	s_mul_hi_u32 s11, s6, s9
	s_mul_i32 s9, s6, s9
	s_add_u32 s8, s8, s9
	s_mul_hi_u32 s10, s6, s0
	s_addc_u32 s7, s7, s11
	s_addc_u32 s8, s10, 0
	s_mul_i32 s0, s6, s0
	s_add_u32 s0, s7, s0
	s_addc_u32 s7, 0, s8
	s_add_u32 s8, s1, s0
	s_cselect_b64 s[0:1], -1, 0
	s_cmp_lg_u64 s[0:1], 0
	s_addc_u32 s6, s6, s7
	s_mul_i32 s0, s3, s6
	s_mul_hi_u32 s1, s3, s8
	s_add_i32 s0, s1, s0
	s_mul_i32 s2, s2, s8
	s_add_i32 s0, s0, s2
	s_mul_i32 s3, s3, s8
	s_mul_hi_u32 s2, s6, s3
	s_mul_i32 s7, s6, s3
	s_mul_i32 s10, s8, s0
	s_mul_hi_u32 s3, s8, s3
	s_mul_hi_u32 s9, s8, s0
	s_add_u32 s3, s3, s10
	s_addc_u32 s9, 0, s9
	s_add_u32 s3, s3, s7
	s_mul_hi_u32 s1, s6, s0
	s_addc_u32 s2, s9, s2
	s_addc_u32 s1, s1, 0
	s_mul_i32 s0, s6, s0
	s_add_u32 s0, s2, s0
	s_addc_u32 s2, 0, s1
	s_add_u32 s3, s8, s0
	s_cselect_b64 s[0:1], -1, 0
	s_cmp_lg_u64 s[0:1], 0
	s_addc_u32 s2, s6, s2
	v_mad_u64_u32 v[5:6], s[0:1], v7, s2, 0
	v_mul_hi_u32 v2, v7, s3
	v_xor_b32_e32 v8, v3, v1
	s_load_dwordx4 s[8:11], s[4:5], 0x48
	s_mov_b64 s[4:5], -1
	v_add_co_u32_e32 v3, vcc, v2, v5
	v_mad_u64_u32 v[1:2], s[0:1], v8, s3, 0
	v_addc_co_u32_e32 v9, vcc, 0, v6, vcc
	v_mad_u64_u32 v[5:6], s[0:1], v8, s2, 0
	v_add_co_u32_e32 v1, vcc, v3, v1
	v_addc_co_u32_e32 v1, vcc, v9, v2, vcc
	v_addc_co_u32_e32 v2, vcc, 0, v6, vcc
	v_add_co_u32_e32 v1, vcc, v1, v5
	v_addc_co_u32_e32 v3, vcc, 0, v2, vcc
	v_mad_u64_u32 v[1:2], s[0:1], s20, v1, 0
	v_mad_u64_u32 v[2:3], s[0:1], s20, v3, v[2:3]
	v_sub_co_u32_e32 v1, vcc, v7, v1
	v_subb_co_u32_e32 v2, vcc, v8, v2, vcc
	v_subrev_co_u32_e32 v3, vcc, s20, v1
	v_subbrev_co_u32_e32 v5, vcc, 0, v2, vcc
	v_subrev_co_u32_e32 v7, vcc, s20, v3
	v_subbrev_co_u32_e32 v6, vcc, 0, v5, vcc
	v_cmp_le_u32_e32 vcc, s20, v3
	v_cndmask_b32_e64 v8, 0, -1, vcc
	v_cmp_eq_u32_e32 vcc, 0, v5
	v_cndmask_b32_e32 v8, -1, v8, vcc
	v_cmp_ne_u32_e32 vcc, 0, v8
	v_cmp_le_u32_e64 s[0:1], s20, v1
	v_cndmask_b32_e32 v5, v5, v6, vcc
	v_cndmask_b32_e64 v6, 0, -1, s[0:1]
	v_cmp_eq_u32_e64 s[0:1], 0, v2
	v_cndmask_b32_e64 v6, -1, v6, s[0:1]
	v_cmp_ne_u32_e64 s[0:1], 0, v6
	v_cndmask_b32_e64 v6, v2, v5, s[0:1]
	v_cndmask_b32_e32 v2, v3, v7, vcc
	v_cndmask_b32_e64 v2, v1, v2, s[0:1]
	v_mov_b32_e32 v5, v2
	v_lshlrev_b64 v[5:6], 2, v[5:6]
	s_waitcnt lgkmcnt(0)
	v_mov_b32_e32 v1, s9
	v_add_co_u32_e32 v5, vcc, s8, v5
	v_addc_co_u32_e32 v6, vcc, v1, v6, vcc
	v_mov_b32_e32 v1, -1
	global_atomic_cmpswap v5, v[5:6], v[0:1], off glc
                                        ; implicit-def: $vgpr3
	s_mov_b64 s[0:1], 0
	v_mov_b32_e32 v3, 0
	s_waitcnt vmcnt(0)
	v_cmp_eq_u32_e64 s[14:15], -1, v5
	v_cmp_ne_u32_e32 vcc, -1, v5
	s_and_saveexec_b64 s[2:3], vcc
	s_cbranch_execz .LBB0_10
; %bb.5:
	v_rcp_iflag_f32_e32 v4, v4
	s_sub_i32 s4, 0, s20
                                        ; implicit-def: $sgpr12_sgpr13
                                        ; implicit-def: $sgpr6_sgpr7
	v_mul_f32_e32 v4, 0x4f7ffffe, v4
	v_cvt_u32_f32_e32 v4, v4
	v_mul_lo_u32 v6, s4, v4
                                        ; implicit-def: $sgpr4_sgpr5
	v_mul_hi_u32 v6, v4, v6
	v_add_u32_e32 v4, v4, v6
	s_branch .LBB0_7
.LBB0_6:                                ;   in Loop: Header=BB0_7 Depth=1
	s_or_b64 exec, exec, s[16:17]
	s_xor_b64 s[16:17], s[6:7], -1
	s_and_b64 s[22:23], exec, s[12:13]
	s_or_b64 s[0:1], s[22:23], s[0:1]
	s_andn2_b64 s[14:15], s[14:15], exec
	s_and_b64 s[18:19], s[18:19], exec
	s_andn2_b64 s[4:5], s[4:5], exec
	s_and_b64 s[16:17], s[16:17], exec
	s_or_b64 s[14:15], s[14:15], s[18:19]
	s_or_b64 s[4:5], s[4:5], s[16:17]
	s_andn2_b64 exec, exec, s[0:1]
	s_cbranch_execz .LBB0_9
.LBB0_7:                                ; =>This Inner Loop Header: Depth=1
	v_cmp_ne_u32_e32 vcc, v5, v0
	s_or_b64 s[6:7], s[6:7], exec
	s_or_b64 s[12:13], s[12:13], exec
                                        ; implicit-def: $sgpr18_sgpr19
                                        ; implicit-def: $vgpr5
	s_and_saveexec_b64 s[16:17], vcc
	s_cbranch_execz .LBB0_6
; %bb.8:                                ;   in Loop: Header=BB0_7 Depth=1
	v_add_u32_e32 v2, 1, v2
	v_mul_hi_u32 v5, v2, v4
	v_mov_b32_e32 v7, s9
	s_andn2_b64 s[12:13], s[12:13], exec
	s_andn2_b64 s[6:7], s[6:7], exec
	v_mul_lo_u32 v5, v5, s20
	v_sub_u32_e32 v2, v2, v5
	v_subrev_u32_e32 v5, s20, v2
	v_cmp_le_u32_e32 vcc, s20, v2
	v_cndmask_b32_e32 v2, v2, v5, vcc
	v_subrev_u32_e32 v5, s20, v2
	v_cmp_le_u32_e32 vcc, s20, v2
	v_cndmask_b32_e32 v2, v2, v5, vcc
	v_lshlrev_b64 v[5:6], 2, v[2:3]
	v_add_co_u32_e32 v5, vcc, s8, v5
	v_addc_co_u32_e32 v6, vcc, v7, v6, vcc
	global_atomic_cmpswap v5, v[5:6], v[0:1], off glc
	s_waitcnt vmcnt(0)
	v_cmp_eq_u32_e64 s[18:19], -1, v5
	s_and_b64 s[14:15], s[18:19], exec
	s_or_b64 s[12:13], s[12:13], s[14:15]
                                        ; implicit-def: $sgpr14_sgpr15
	s_branch .LBB0_6
.LBB0_9:
	s_or_b64 exec, exec, s[0:1]
	s_orn2_b64 s[4:5], s[4:5], exec
.LBB0_10:
	s_or_b64 exec, exec, s[2:3]
	s_and_saveexec_b64 s[0:1], s[4:5]
	s_xor_b64 s[0:1], exec, s[0:1]
	s_cbranch_execz .LBB0_14
; %bb.11:
	s_mov_b64 s[2:3], exec
	v_mbcnt_lo_u32_b32 v0, s2, 0
	v_mbcnt_hi_u32_b32 v0, s3, v0
	v_cmp_eq_u32_e32 vcc, 0, v0
                                        ; implicit-def: $vgpr1
	s_and_saveexec_b64 s[0:1], vcc
	s_cbranch_execz .LBB0_13
; %bb.12:
	s_bcnt1_i32_b64 s2, s[2:3]
	v_mov_b32_e32 v1, 0
	v_mov_b32_e32 v3, s2
	global_atomic_add v1, v1, v3, s[10:11] glc
.LBB0_13:
	s_or_b64 exec, exec, s[0:1]
	s_waitcnt vmcnt(0)
	v_readfirstlane_b32 s0, v1
	v_add_u32_e32 v3, s0, v0
	v_add_u32_e32 v0, s20, v2
	v_mov_b32_e32 v1, 0
	v_lshlrev_b64 v[0:1], 2, v[0:1]
	v_mov_b32_e32 v2, s9
	v_add_co_u32_e32 v0, vcc, s8, v0
	v_addc_co_u32_e32 v1, vcc, v2, v1, vcc
	global_store_dword v[0:1], v3, off
.LBB0_14:
	s_endpgm
	.section	.rodata,"a",@progbits
	.p2align	6, 0x0
	.amdhsa_kernel _Z15buildHashKernelPKfmfffffffffiiiiPjS1_
		.amdhsa_group_segment_fixed_size 0
		.amdhsa_private_segment_fixed_size 0
		.amdhsa_kernarg_size 344
		.amdhsa_user_sgpr_count 6
		.amdhsa_user_sgpr_private_segment_buffer 1
		.amdhsa_user_sgpr_dispatch_ptr 0
		.amdhsa_user_sgpr_queue_ptr 0
		.amdhsa_user_sgpr_kernarg_segment_ptr 1
		.amdhsa_user_sgpr_dispatch_id 0
		.amdhsa_user_sgpr_flat_scratch_init 0
		.amdhsa_user_sgpr_private_segment_size 0
		.amdhsa_uses_dynamic_stack 0
		.amdhsa_system_sgpr_private_segment_wavefront_offset 0
		.amdhsa_system_sgpr_workgroup_id_x 1
		.amdhsa_system_sgpr_workgroup_id_y 0
		.amdhsa_system_sgpr_workgroup_id_z 0
		.amdhsa_system_sgpr_workgroup_info 0
		.amdhsa_system_vgpr_workitem_id 0
		.amdhsa_next_free_vgpr 10
		.amdhsa_next_free_sgpr 24
		.amdhsa_reserve_vcc 1
		.amdhsa_reserve_flat_scratch 0
		.amdhsa_float_round_mode_32 0
		.amdhsa_float_round_mode_16_64 0
		.amdhsa_float_denorm_mode_32 3
		.amdhsa_float_denorm_mode_16_64 3
		.amdhsa_dx10_clamp 1
		.amdhsa_ieee_mode 1
		.amdhsa_fp16_overflow 0
		.amdhsa_exception_fp_ieee_invalid_op 0
		.amdhsa_exception_fp_denorm_src 0
		.amdhsa_exception_fp_ieee_div_zero 0
		.amdhsa_exception_fp_ieee_overflow 0
		.amdhsa_exception_fp_ieee_underflow 0
		.amdhsa_exception_fp_ieee_inexact 0
		.amdhsa_exception_int_div_zero 0
	.end_amdhsa_kernel
	.text
.Lfunc_end0:
	.size	_Z15buildHashKernelPKfmfffffffffiiiiPjS1_, .Lfunc_end0-_Z15buildHashKernelPKfmfffffffffiiiiPjS1_
                                        ; -- End function
	.set _Z15buildHashKernelPKfmfffffffffiiiiPjS1_.num_vgpr, 10
	.set _Z15buildHashKernelPKfmfffffffffiiiiPjS1_.num_agpr, 0
	.set _Z15buildHashKernelPKfmfffffffffiiiiPjS1_.numbered_sgpr, 24
	.set _Z15buildHashKernelPKfmfffffffffiiiiPjS1_.num_named_barrier, 0
	.set _Z15buildHashKernelPKfmfffffffffiiiiPjS1_.private_seg_size, 0
	.set _Z15buildHashKernelPKfmfffffffffiiiiPjS1_.uses_vcc, 1
	.set _Z15buildHashKernelPKfmfffffffffiiiiPjS1_.uses_flat_scratch, 0
	.set _Z15buildHashKernelPKfmfffffffffiiiiPjS1_.has_dyn_sized_stack, 0
	.set _Z15buildHashKernelPKfmfffffffffiiiiPjS1_.has_recursion, 0
	.set _Z15buildHashKernelPKfmfffffffffiiiiPjS1_.has_indirect_call, 0
	.section	.AMDGPU.csdata,"",@progbits
; Kernel info:
; codeLenInByte = 1480
; TotalNumSgprs: 28
; NumVgprs: 10
; ScratchSize: 0
; MemoryBound: 0
; FloatMode: 240
; IeeeMode: 1
; LDSByteSize: 0 bytes/workgroup (compile time only)
; SGPRBlocks: 3
; VGPRBlocks: 2
; NumSGPRsForWavesPerEU: 28
; NumVGPRsForWavesPerEU: 10
; Occupancy: 10
; WaveLimiterHint : 0
; COMPUTE_PGM_RSRC2:SCRATCH_EN: 0
; COMPUTE_PGM_RSRC2:USER_SGPR: 6
; COMPUTE_PGM_RSRC2:TRAP_HANDLER: 0
; COMPUTE_PGM_RSRC2:TGID_X_EN: 1
; COMPUTE_PGM_RSRC2:TGID_Y_EN: 0
; COMPUTE_PGM_RSRC2:TGID_Z_EN: 0
; COMPUTE_PGM_RSRC2:TIDIG_COMP_CNT: 0
	.text
	.protected	_Z18voxelizationKernelPKfmfffffffffiiiiiiPjS1_PfS1_ ; -- Begin function _Z18voxelizationKernelPKfmfffffffffiiiiiiPjS1_PfS1_
	.globl	_Z18voxelizationKernelPKfmfffffffffiiiiiiPjS1_PfS1_
	.p2align	8
	.type	_Z18voxelizationKernelPKfmfffffffffiiiiiiPjS1_PfS1_,@function
_Z18voxelizationKernelPKfmfffffffffiiiiiiPjS1_PfS1_: ; @_Z18voxelizationKernelPKfmfffffffffiiiiiiPjS1_PfS1_
; %bb.0:
	s_load_dword s0, s[4:5], 0x7c
	s_load_dwordx4 s[20:23], s[4:5], 0x0
	s_waitcnt lgkmcnt(0)
	s_and_b32 s0, s0, 0xffff
	s_mul_i32 s6, s6, s0
	v_add_u32_e32 v0, s6, v0
	v_ashrrev_i32_e32 v1, 31, v0
	v_cmp_gt_u64_e32 vcc, s[22:23], v[0:1]
	s_and_saveexec_b64 s[0:1], vcc
	s_cbranch_execz .LBB1_19
; %bb.1:
	s_load_dwordx4 s[24:27], s[4:5], 0x40
	v_mov_b32_e32 v2, s21
	s_load_dwordx8 s[12:19], s[4:5], 0x10
	s_waitcnt lgkmcnt(0)
	v_mul_lo_u32 v4, v0, s24
	v_ashrrev_i32_e32 v5, 31, v4
	v_lshlrev_b64 v[0:1], 2, v[4:5]
	v_add_co_u32_e32 v0, vcc, s20, v0
	v_addc_co_u32_e32 v1, vcc, v2, v1, vcc
	global_load_dwordx3 v[1:3], v[0:1], off
	s_waitcnt vmcnt(0)
	v_cmp_ngt_f32_e32 vcc, s12, v1
	v_cmp_nle_f32_e64 s[0:1], s13, v1
	v_cmp_ngt_f32_e64 s[2:3], s14, v2
	v_cmp_nle_f32_e64 s[6:7], s15, v2
	v_cmp_ngt_f32_e64 s[8:9], s16, v3
	v_cmp_nle_f32_e64 s[10:11], s17, v3
	s_and_b64 s[0:1], vcc, s[0:1]
	s_and_b64 s[2:3], s[2:3], s[6:7]
	s_and_b64 s[0:1], s[0:1], s[2:3]
	;; [unrolled: 1-line block ×4, first 2 shown]
	s_and_b64 exec, exec, s[0:1]
	s_cbranch_execz .LBB1_19
; %bb.2:
	v_subrev_f32_e32 v0, s12, v1
	v_div_scale_f32 v1, s[0:1], s18, s18, v0
	v_div_scale_f32 v5, vcc, v0, s18, v0
	s_load_dwordx4 s[0:3], s[4:5], 0x30
	v_rcp_f32_e32 v6, v1
	v_fma_f32 v7, -v1, v6, 1.0
	v_fmac_f32_e32 v6, v7, v6
	v_mul_f32_e32 v7, v5, v6
	v_fma_f32 v8, -v1, v7, v5
	v_fmac_f32_e32 v7, v8, v6
	v_fma_f32 v1, -v1, v7, v5
	v_div_fmas_f32 v1, v1, v6, v7
	v_div_fixup_f32 v0, v1, s18, v0
	v_floor_f32_e32 v0, v0
	v_cvt_i32_f32_e32 v1, v0
	s_waitcnt lgkmcnt(0)
	v_cmp_gt_i32_e32 vcc, s3, v1
	s_and_b64 exec, exec, vcc
	s_cbranch_execz .LBB1_19
; %bb.3:
	v_subrev_f32_e32 v0, s14, v2
	v_div_scale_f32 v2, s[6:7], s19, s19, v0
	v_div_scale_f32 v5, vcc, v0, s19, v0
	v_rcp_f32_e32 v6, v2
	v_fma_f32 v7, -v2, v6, 1.0
	v_fmac_f32_e32 v6, v7, v6
	v_mul_f32_e32 v7, v5, v6
	v_fma_f32 v8, -v2, v7, v5
	v_fmac_f32_e32 v7, v8, v6
	v_fma_f32 v2, -v2, v7, v5
	v_div_fmas_f32 v2, v2, v6, v7
	v_div_fixup_f32 v0, v2, s19, v0
	v_floor_f32_e32 v0, v0
	v_cvt_i32_f32_e32 v2, v0
	v_cmp_gt_i32_e32 vcc, s2, v2
	s_and_b64 exec, exec, vcc
	s_cbranch_execz .LBB1_19
; %bb.4:
	v_subrev_f32_e32 v0, s16, v3
	v_div_scale_f32 v3, s[6:7], s0, s0, v0
	v_div_scale_f32 v5, vcc, v0, s0, v0
	v_rcp_f32_e32 v6, v3
	v_fma_f32 v7, -v3, v6, 1.0
	v_fmac_f32_e32 v6, v7, v6
	v_mul_f32_e32 v7, v5, v6
	v_fma_f32 v8, -v3, v7, v5
	v_fmac_f32_e32 v7, v8, v6
	v_fma_f32 v3, -v3, v7, v5
	v_div_fmas_f32 v3, v3, v6, v7
	v_div_fixup_f32 v0, v3, s0, v0
	v_floor_f32_e32 v0, v0
	v_cvt_i32_f32_e32 v3, v0
	v_cmp_gt_i32_e32 vcc, s1, v3
	s_and_b64 exec, exec, vcc
	s_cbranch_execz .LBB1_19
; %bb.5:
	v_mad_u64_u32 v[5:6], s[0:1], s2, v3, v[2:3]
	s_lshl_b32 s22, s22, 1
	s_mov_b32 s2, 0xc2b2ae35
	v_mad_u64_u32 v[5:6], s[0:1], v5, s3, v[1:2]
	s_mov_b32 s0, 0x85ebca6b
	s_sub_u32 s3, 0, s22
	v_xor_b32_sdwa v0, v5, v5 dst_sel:DWORD dst_unused:UNUSED_PAD src0_sel:WORD_1 src1_sel:DWORD
	v_mad_u64_u32 v[6:7], s[0:1], v0, s0, 0
	v_cvt_f32_u32_e32 v0, s22
	v_lshrrev_b64 v[8:9], 13, v[6:7]
	v_xor_b32_e32 v6, v8, v6
	v_mad_u64_u32 v[10:11], s[0:1], v6, s2, 0
	v_madmk_f32 v6, 0, 0x4f800000, v0
	v_rcp_f32_e32 v8, v6
	v_xor_b32_e32 v7, v9, v7
	v_mov_b32_e32 v6, v11
	v_mad_u64_u32 v[6:7], s[0:1], v7, s2, v[6:7]
	v_mul_f32_e32 v9, 0x5f7ffffc, v8
	v_mul_f32_e32 v7, 0x2f800000, v9
	v_mov_b32_e32 v11, v6
	v_trunc_f32_e32 v12, v7
	v_lshrrev_b64 v[7:8], 16, v[10:11]
	v_cvt_u32_f32_e32 v11, v12
	v_xor_b32_e32 v13, v7, v10
	v_madmk_f32 v7, v12, 0xcf800000, v9
	v_cvt_u32_f32_e32 v7, v7
	v_readfirstlane_b32 s6, v11
	s_subb_u32 s2, 0, 0
	s_mul_i32 s0, s3, s6
	v_readfirstlane_b32 s1, v7
	s_mul_hi_u32 s7, s3, s1
	s_add_i32 s0, s7, s0
	s_mul_i32 s7, s2, s1
	s_add_i32 s0, s0, s7
	s_mul_i32 s9, s3, s1
	s_mul_i32 s8, s1, s0
	s_mul_hi_u32 s10, s1, s9
	s_mul_hi_u32 s7, s1, s0
	s_add_u32 s8, s10, s8
	s_addc_u32 s7, 0, s7
	s_mul_hi_u32 s11, s6, s9
	s_mul_i32 s9, s6, s9
	s_add_u32 s8, s8, s9
	s_mul_hi_u32 s10, s6, s0
	s_addc_u32 s7, s7, s11
	s_addc_u32 s8, s10, 0
	s_mul_i32 s0, s6, s0
	s_add_u32 s0, s7, s0
	s_addc_u32 s7, 0, s8
	s_add_u32 s8, s1, s0
	s_cselect_b64 s[0:1], -1, 0
	s_cmp_lg_u64 s[0:1], 0
	s_addc_u32 s6, s6, s7
	s_mul_i32 s0, s3, s6
	s_mul_hi_u32 s1, s3, s8
	s_add_i32 s0, s1, s0
	s_mul_i32 s2, s2, s8
	s_add_i32 s0, s0, s2
	s_mul_i32 s3, s3, s8
	s_mul_hi_u32 s2, s6, s3
	s_mul_i32 s7, s6, s3
	s_mul_i32 s10, s8, s0
	s_mul_hi_u32 s3, s8, s3
	s_mul_hi_u32 s9, s8, s0
	s_add_u32 s3, s3, s10
	s_addc_u32 s9, 0, s9
	s_add_u32 s3, s3, s7
	s_mul_hi_u32 s1, s6, s0
	s_addc_u32 s2, s9, s2
	s_addc_u32 s1, s1, 0
	s_mul_i32 s0, s6, s0
	s_add_u32 s0, s2, s0
	s_addc_u32 s2, 0, s1
	s_add_u32 s3, s8, s0
	s_cselect_b64 s[0:1], -1, 0
	s_cmp_lg_u64 s[0:1], 0
	s_addc_u32 s2, s6, s2
	v_mad_u64_u32 v[9:10], s[0:1], v13, s2, 0
	v_mul_hi_u32 v7, v13, s3
	v_xor_b32_e32 v11, v8, v6
	s_load_dwordx8 s[8:15], s[4:5], 0x50
	s_mov_b64 s[4:5], -1
	v_add_co_u32_e32 v12, vcc, v7, v9
	v_mad_u64_u32 v[6:7], s[0:1], v11, s3, 0
	v_mad_u64_u32 v[8:9], s[0:1], v11, s2, 0
	v_addc_co_u32_e32 v10, vcc, 0, v10, vcc
	v_add_co_u32_e32 v6, vcc, v12, v6
	v_addc_co_u32_e32 v6, vcc, v10, v7, vcc
	v_addc_co_u32_e32 v7, vcc, 0, v9, vcc
	v_add_co_u32_e32 v6, vcc, v6, v8
	v_addc_co_u32_e32 v8, vcc, 0, v7, vcc
	v_mad_u64_u32 v[6:7], s[0:1], s22, v6, 0
	v_mad_u64_u32 v[7:8], s[0:1], s22, v8, v[7:8]
	v_sub_co_u32_e32 v6, vcc, v13, v6
	v_subb_co_u32_e32 v7, vcc, v11, v7, vcc
	v_subrev_co_u32_e32 v9, vcc, s22, v6
	v_subbrev_co_u32_e32 v8, vcc, 0, v7, vcc
	v_subrev_co_u32_e32 v10, vcc, s22, v9
	v_subbrev_co_u32_e32 v11, vcc, 0, v8, vcc
	v_cmp_le_u32_e32 vcc, s22, v9
	v_cndmask_b32_e64 v12, 0, -1, vcc
	v_cmp_eq_u32_e32 vcc, 0, v8
	v_cndmask_b32_e32 v12, -1, v12, vcc
	v_cmp_ne_u32_e32 vcc, 0, v12
	v_cmp_le_u32_e64 s[0:1], s22, v6
	v_cndmask_b32_e32 v8, v8, v11, vcc
	v_cndmask_b32_e64 v11, 0, -1, s[0:1]
	v_cmp_eq_u32_e64 s[0:1], 0, v7
	v_cndmask_b32_e64 v11, -1, v11, s[0:1]
	v_cmp_ne_u32_e64 s[0:1], 0, v11
	v_cndmask_b32_e64 v8, v7, v8, s[0:1]
	v_cndmask_b32_e32 v7, v9, v10, vcc
	v_cndmask_b32_e64 v6, v6, v7, s[0:1]
	v_mov_b32_e32 v7, v6
	v_lshlrev_b64 v[7:8], 2, v[7:8]
	s_waitcnt lgkmcnt(0)
	v_mov_b32_e32 v9, s9
	v_add_co_u32_e32 v7, vcc, s8, v7
	v_addc_co_u32_e32 v8, vcc, v9, v8, vcc
	global_load_dword v8, v[7:8], off
                                        ; implicit-def: $vgpr7
	s_mov_b64 s[0:1], 0
	v_mov_b32_e32 v7, 0
	s_waitcnt vmcnt(0)
	v_cmp_ne_u32_e32 vcc, v8, v5
	s_and_saveexec_b64 s[2:3], vcc
	s_cbranch_execnz .LBB1_8
; %bb.6:
	s_or_b64 exec, exec, s[2:3]
	v_mov_b32_e32 v7, -1
	s_and_saveexec_b64 s[0:1], s[4:5]
	s_cbranch_execnz .LBB1_13
.LBB1_7:
	s_or_b64 exec, exec, s[0:1]
	v_cmp_gt_u32_e32 vcc, s25, v7
	s_and_b64 exec, exec, vcc
	s_cbranch_execnz .LBB1_14
	s_branch .LBB1_19
.LBB1_8:
	v_rcp_iflag_f32_e32 v0, v0
	s_sub_i32 s4, 0, s22
                                        ; implicit-def: $sgpr16_sgpr17
                                        ; implicit-def: $sgpr6_sgpr7
	v_mul_f32_e32 v0, 0x4f7ffffe, v0
	v_cvt_u32_f32_e32 v0, v0
	v_mul_lo_u32 v9, s4, v0
                                        ; implicit-def: $sgpr4_sgpr5
	v_mul_hi_u32 v9, v0, v9
	v_add_u32_e32 v0, v0, v9
	s_branch .LBB1_10
.LBB1_9:                                ;   in Loop: Header=BB1_10 Depth=1
	s_or_b64 exec, exec, s[18:19]
	s_xor_b64 s[18:19], s[6:7], -1
	s_and_b64 s[28:29], exec, s[16:17]
	s_or_b64 s[0:1], s[28:29], s[0:1]
	s_andn2_b64 s[4:5], s[4:5], exec
	s_and_b64 s[18:19], s[18:19], exec
	s_or_b64 s[4:5], s[4:5], s[18:19]
	s_andn2_b64 exec, exec, s[0:1]
	s_cbranch_execz .LBB1_12
.LBB1_10:                               ; =>This Inner Loop Header: Depth=1
	v_cmp_ne_u32_e32 vcc, -1, v8
	s_or_b64 s[6:7], s[6:7], exec
	s_or_b64 s[16:17], s[16:17], exec
                                        ; implicit-def: $vgpr8
	s_and_saveexec_b64 s[18:19], vcc
	s_cbranch_execz .LBB1_9
; %bb.11:                               ;   in Loop: Header=BB1_10 Depth=1
	v_add_u32_e32 v6, 1, v6
	v_mul_hi_u32 v8, v6, v0
	v_mov_b32_e32 v10, s9
	s_andn2_b64 s[16:17], s[16:17], exec
	s_andn2_b64 s[6:7], s[6:7], exec
	v_mul_lo_u32 v8, v8, s22
	v_sub_u32_e32 v6, v6, v8
	v_subrev_u32_e32 v8, s22, v6
	v_cmp_le_u32_e32 vcc, s22, v6
	v_cndmask_b32_e32 v6, v6, v8, vcc
	v_subrev_u32_e32 v8, s22, v6
	v_cmp_le_u32_e32 vcc, s22, v6
	v_cndmask_b32_e32 v6, v6, v8, vcc
	v_lshlrev_b64 v[8:9], 2, v[6:7]
	v_add_co_u32_e32 v8, vcc, s8, v8
	v_addc_co_u32_e32 v9, vcc, v10, v9, vcc
	global_load_dword v8, v[8:9], off
	s_waitcnt vmcnt(0)
	v_cmp_eq_u32_e32 vcc, v8, v5
	s_and_b64 s[28:29], vcc, exec
	s_or_b64 s[16:17], s[16:17], s[28:29]
	s_branch .LBB1_9
.LBB1_12:
	s_or_b64 exec, exec, s[0:1]
	s_orn2_b64 s[4:5], s[4:5], exec
	s_or_b64 exec, exec, s[2:3]
	v_mov_b32_e32 v7, -1
	s_and_saveexec_b64 s[0:1], s[4:5]
	s_cbranch_execz .LBB1_7
.LBB1_13:
	v_add_u32_e32 v5, s22, v6
	v_mov_b32_e32 v6, 0
	v_lshlrev_b64 v[5:6], 2, v[5:6]
	v_mov_b32_e32 v0, s9
	v_add_co_u32_e32 v5, vcc, s8, v5
	v_addc_co_u32_e32 v6, vcc, v0, v6, vcc
	global_load_dword v7, v[5:6], off
	s_or_b64 exec, exec, s[0:1]
	s_waitcnt vmcnt(0)
	v_cmp_gt_u32_e32 vcc, s25, v7
	s_and_b64 exec, exec, vcc
	s_cbranch_execz .LBB1_19
.LBB1_14:
	v_mov_b32_e32 v8, 0
	v_lshlrev_b64 v[5:6], 2, v[7:8]
	v_mov_b32_e32 v0, s11
	v_add_co_u32_e32 v5, vcc, s10, v5
	v_addc_co_u32_e32 v6, vcc, v0, v6, vcc
	v_mov_b32_e32 v0, 1
	global_atomic_add v0, v[5:6], v0, off glc
	s_waitcnt vmcnt(0)
	v_cmp_gt_u32_e32 vcc, s26, v0
	s_and_b64 exec, exec, vcc
	s_cbranch_execz .LBB1_19
; %bb.15:
	s_cmp_lt_i32 s24, 1
	s_cbranch_scc1 .LBB1_18
; %bb.16:
	v_mad_u64_u32 v[5:6], s[0:1], v7, s26, v[0:1]
	v_mov_b32_e32 v0, s21
	v_mov_b32_e32 v6, s13
	v_mul_lo_u32 v9, v5, s24
	v_mov_b32_e32 v5, 0
.LBB1_17:                               ; =>This Inner Loop Header: Depth=1
	v_lshlrev_b64 v[10:11], 2, v[4:5]
	s_add_i32 s24, s24, -1
	v_add_co_u32_e32 v10, vcc, s20, v10
	v_addc_co_u32_e32 v11, vcc, v0, v11, vcc
	global_load_dword v12, v[10:11], off
	v_mov_b32_e32 v10, v5
	v_lshlrev_b64 v[10:11], 2, v[9:10]
	v_add_u32_e32 v4, 1, v4
	v_add_co_u32_e32 v10, vcc, s12, v10
	v_add_u32_e32 v9, 1, v9
	s_cmp_eq_u32 s24, 0
	v_addc_co_u32_e32 v11, vcc, v6, v11, vcc
	s_waitcnt vmcnt(0)
	global_store_dword v[10:11], v12, off
	s_cbranch_scc0 .LBB1_17
.LBB1_18:
	v_lshlrev_b64 v[4:5], 4, v[7:8]
	v_mov_b32_e32 v0, s15
	v_add_co_u32_e32 v4, vcc, s14, v4
	v_addc_co_u32_e32 v5, vcc, v0, v5, vcc
	v_mov_b32_e32 v0, 0
	global_store_dwordx4 v[4:5], v[0:3], off
.LBB1_19:
	s_endpgm
	.section	.rodata,"a",@progbits
	.p2align	6, 0x0
	.amdhsa_kernel _Z18voxelizationKernelPKfmfffffffffiiiiiiPjS1_PfS1_
		.amdhsa_group_segment_fixed_size 0
		.amdhsa_private_segment_fixed_size 0
		.amdhsa_kernarg_size 368
		.amdhsa_user_sgpr_count 6
		.amdhsa_user_sgpr_private_segment_buffer 1
		.amdhsa_user_sgpr_dispatch_ptr 0
		.amdhsa_user_sgpr_queue_ptr 0
		.amdhsa_user_sgpr_kernarg_segment_ptr 1
		.amdhsa_user_sgpr_dispatch_id 0
		.amdhsa_user_sgpr_flat_scratch_init 0
		.amdhsa_user_sgpr_private_segment_size 0
		.amdhsa_uses_dynamic_stack 0
		.amdhsa_system_sgpr_private_segment_wavefront_offset 0
		.amdhsa_system_sgpr_workgroup_id_x 1
		.amdhsa_system_sgpr_workgroup_id_y 0
		.amdhsa_system_sgpr_workgroup_id_z 0
		.amdhsa_system_sgpr_workgroup_info 0
		.amdhsa_system_vgpr_workitem_id 0
		.amdhsa_next_free_vgpr 14
		.amdhsa_next_free_sgpr 30
		.amdhsa_reserve_vcc 1
		.amdhsa_reserve_flat_scratch 0
		.amdhsa_float_round_mode_32 0
		.amdhsa_float_round_mode_16_64 0
		.amdhsa_float_denorm_mode_32 3
		.amdhsa_float_denorm_mode_16_64 3
		.amdhsa_dx10_clamp 1
		.amdhsa_ieee_mode 1
		.amdhsa_fp16_overflow 0
		.amdhsa_exception_fp_ieee_invalid_op 0
		.amdhsa_exception_fp_denorm_src 0
		.amdhsa_exception_fp_ieee_div_zero 0
		.amdhsa_exception_fp_ieee_overflow 0
		.amdhsa_exception_fp_ieee_underflow 0
		.amdhsa_exception_fp_ieee_inexact 0
		.amdhsa_exception_int_div_zero 0
	.end_amdhsa_kernel
	.text
.Lfunc_end1:
	.size	_Z18voxelizationKernelPKfmfffffffffiiiiiiPjS1_PfS1_, .Lfunc_end1-_Z18voxelizationKernelPKfmfffffffffiiiiiiPjS1_PfS1_
                                        ; -- End function
	.set _Z18voxelizationKernelPKfmfffffffffiiiiiiPjS1_PfS1_.num_vgpr, 14
	.set _Z18voxelizationKernelPKfmfffffffffiiiiiiPjS1_PfS1_.num_agpr, 0
	.set _Z18voxelizationKernelPKfmfffffffffiiiiiiPjS1_PfS1_.numbered_sgpr, 30
	.set _Z18voxelizationKernelPKfmfffffffffiiiiiiPjS1_PfS1_.num_named_barrier, 0
	.set _Z18voxelizationKernelPKfmfffffffffiiiiiiPjS1_PfS1_.private_seg_size, 0
	.set _Z18voxelizationKernelPKfmfffffffffiiiiiiPjS1_PfS1_.uses_vcc, 1
	.set _Z18voxelizationKernelPKfmfffffffffiiiiiiPjS1_PfS1_.uses_flat_scratch, 0
	.set _Z18voxelizationKernelPKfmfffffffffiiiiiiPjS1_PfS1_.has_dyn_sized_stack, 0
	.set _Z18voxelizationKernelPKfmfffffffffiiiiiiPjS1_PfS1_.has_recursion, 0
	.set _Z18voxelizationKernelPKfmfffffffffiiiiiiPjS1_PfS1_.has_indirect_call, 0
	.section	.AMDGPU.csdata,"",@progbits
; Kernel info:
; codeLenInByte = 1644
; TotalNumSgprs: 34
; NumVgprs: 14
; ScratchSize: 0
; MemoryBound: 0
; FloatMode: 240
; IeeeMode: 1
; LDSByteSize: 0 bytes/workgroup (compile time only)
; SGPRBlocks: 4
; VGPRBlocks: 3
; NumSGPRsForWavesPerEU: 34
; NumVGPRsForWavesPerEU: 14
; Occupancy: 10
; WaveLimiterHint : 0
; COMPUTE_PGM_RSRC2:SCRATCH_EN: 0
; COMPUTE_PGM_RSRC2:USER_SGPR: 6
; COMPUTE_PGM_RSRC2:TRAP_HANDLER: 0
; COMPUTE_PGM_RSRC2:TGID_X_EN: 1
; COMPUTE_PGM_RSRC2:TGID_Y_EN: 0
; COMPUTE_PGM_RSRC2:TGID_Z_EN: 0
; COMPUTE_PGM_RSRC2:TIDIG_COMP_CNT: 0
	.text
	.protected	_Z23featureExtractionKernelPfPjiiP6__half ; -- Begin function _Z23featureExtractionKernelPfPjiiP6__half
	.globl	_Z23featureExtractionKernelPfPjiiP6__half
	.p2align	8
	.type	_Z23featureExtractionKernelPfPjiiP6__half,@function
_Z23featureExtractionKernelPfPjiiP6__half: ; @_Z23featureExtractionKernelPfPjiiP6__half
; %bb.0:
	s_load_dword s0, s[4:5], 0x2c
	s_load_dwordx4 s[8:11], s[4:5], 0x0
	s_load_dwordx2 s[2:3], s[4:5], 0x10
	s_waitcnt lgkmcnt(0)
	s_and_b32 s0, s0, 0xffff
	s_mul_i32 s6, s6, s0
	v_add_u32_e32 v0, s6, v0
	v_ashrrev_i32_e32 v1, 31, v0
	v_lshlrev_b64 v[1:2], 2, v[0:1]
	v_mov_b32_e32 v3, s11
	v_add_co_u32_e32 v1, vcc, s10, v1
	v_addc_co_u32_e32 v2, vcc, v3, v2, vcc
	global_load_dword v3, v[1:2], off
	s_waitcnt vmcnt(0)
	v_cmp_lt_i32_e32 vcc, s2, v3
	s_and_saveexec_b64 s[0:1], vcc
	s_cbranch_execz .LBB2_2
; %bb.1:
	v_mov_b32_e32 v3, s2
	global_store_dword v[1:2], v3, off
.LBB2_2:
	s_or_b64 exec, exec, s[0:1]
	s_cmp_lt_i32 s3, 1
	s_cbranch_scc1 .LBB2_11
; %bb.3:
	v_mul_lo_u32 v1, v0, s2
	v_cvt_f32_i32_e32 v6, v3
	v_cmp_lt_i32_e64 s[0:1], 1, v3
	v_add_u32_e32 v7, -1, v3
	v_mul_lo_u32 v5, v1, s3
	s_mov_b32 s12, 0
	v_mov_b32_e32 v9, s9
	v_add_u32_e32 v8, s3, v5
	s_branch .LBB2_5
.LBB2_4:                                ;   in Loop: Header=BB2_5 Depth=1
	s_or_b64 exec, exec, s[6:7]
	s_waitcnt vmcnt(0)
	v_div_scale_f32 v3, s[6:7], v6, v6, v10
	v_div_scale_f32 v4, vcc, v10, v6, v10
	s_add_i32 s12, s12, 1
	s_cmp_eq_u32 s12, s3
	v_add_u32_e32 v8, 1, v8
	v_rcp_f32_e32 v11, v3
	v_fma_f32 v12, -v3, v11, 1.0
	v_fmac_f32_e32 v11, v12, v11
	v_mul_f32_e32 v12, v4, v11
	v_fma_f32 v13, -v3, v12, v4
	v_fmac_f32_e32 v12, v13, v11
	v_fma_f32 v3, -v3, v12, v4
	v_div_fmas_f32 v3, v3, v11, v12
	v_div_fixup_f32 v3, v3, v6, v10
	global_store_dword v[1:2], v3, off
	s_cbranch_scc1 .LBB2_9
.LBB2_5:                                ; =>This Loop Header: Depth=1
                                        ;     Child Loop BB2_7 Depth 2
	v_add_u32_e32 v1, s12, v5
	v_ashrrev_i32_e32 v2, 31, v1
	v_lshlrev_b64 v[1:2], 2, v[1:2]
	v_add_co_u32_e32 v1, vcc, s8, v1
	v_addc_co_u32_e32 v2, vcc, v9, v2, vcc
	global_load_dword v10, v[1:2], off
	s_and_saveexec_b64 s[6:7], s[0:1]
	s_cbranch_execz .LBB2_4
; %bb.6:                                ;   in Loop: Header=BB2_5 Depth=1
	s_mov_b64 s[10:11], 0
	v_mov_b32_e32 v3, v8
	v_mov_b32_e32 v11, v7
.LBB2_7:                                ;   Parent Loop BB2_5 Depth=1
                                        ; =>  This Inner Loop Header: Depth=2
	v_ashrrev_i32_e32 v4, 31, v3
	v_lshlrev_b64 v[12:13], 2, v[3:4]
	v_add_u32_e32 v11, -1, v11
	v_add_co_u32_e32 v12, vcc, s8, v12
	v_addc_co_u32_e32 v13, vcc, v9, v13, vcc
	global_load_dword v4, v[12:13], off
	v_cmp_eq_u32_e32 vcc, 0, v11
	s_or_b64 s[10:11], vcc, s[10:11]
	v_add_u32_e32 v3, s3, v3
	s_waitcnt vmcnt(0)
	v_add_f32_e32 v10, v10, v4
	s_andn2_b64 exec, exec, s[10:11]
	s_cbranch_execnz .LBB2_7
; %bb.8:                                ;   in Loop: Header=BB2_5 Depth=1
	s_or_b64 exec, exec, s[10:11]
	s_branch .LBB2_4
.LBB2_9:
	v_mul_lo_u32 v0, v0, s3
	s_load_dwordx2 s[0:1], s[4:5], 0x18
	v_mov_b32_e32 v4, s9
	v_mul_lo_u32 v2, v0, s2
	v_ashrrev_i32_e32 v1, 31, v0
	v_lshlrev_b64 v[0:1], 1, v[0:1]
	s_waitcnt lgkmcnt(0)
	v_mov_b32_e32 v3, s1
	v_add_co_u32_e32 v0, vcc, s0, v0
	v_addc_co_u32_e32 v1, vcc, v3, v1, vcc
	v_ashrrev_i32_e32 v3, 31, v2
	v_lshlrev_b64 v[2:3], 2, v[2:3]
	v_add_co_u32_e32 v2, vcc, s8, v2
	v_addc_co_u32_e32 v3, vcc, v4, v3, vcc
.LBB2_10:                               ; =>This Inner Loop Header: Depth=1
	global_load_dword v4, v[2:3], off
	v_add_co_u32_e32 v2, vcc, 4, v2
	v_addc_co_u32_e32 v3, vcc, 0, v3, vcc
	s_add_i32 s3, s3, -1
	s_cmp_eq_u32 s3, 0
	s_waitcnt vmcnt(0)
	v_cvt_f16_f32_e32 v4, v4
	global_store_short v[0:1], v4, off
	v_add_co_u32_e32 v0, vcc, 2, v0
	v_addc_co_u32_e32 v1, vcc, 0, v1, vcc
	s_cbranch_scc0 .LBB2_10
.LBB2_11:
	s_endpgm
	.section	.rodata,"a",@progbits
	.p2align	6, 0x0
	.amdhsa_kernel _Z23featureExtractionKernelPfPjiiP6__half
		.amdhsa_group_segment_fixed_size 0
		.amdhsa_private_segment_fixed_size 0
		.amdhsa_kernarg_size 288
		.amdhsa_user_sgpr_count 6
		.amdhsa_user_sgpr_private_segment_buffer 1
		.amdhsa_user_sgpr_dispatch_ptr 0
		.amdhsa_user_sgpr_queue_ptr 0
		.amdhsa_user_sgpr_kernarg_segment_ptr 1
		.amdhsa_user_sgpr_dispatch_id 0
		.amdhsa_user_sgpr_flat_scratch_init 0
		.amdhsa_user_sgpr_private_segment_size 0
		.amdhsa_uses_dynamic_stack 0
		.amdhsa_system_sgpr_private_segment_wavefront_offset 0
		.amdhsa_system_sgpr_workgroup_id_x 1
		.amdhsa_system_sgpr_workgroup_id_y 0
		.amdhsa_system_sgpr_workgroup_id_z 0
		.amdhsa_system_sgpr_workgroup_info 0
		.amdhsa_system_vgpr_workitem_id 0
		.amdhsa_next_free_vgpr 14
		.amdhsa_next_free_sgpr 13
		.amdhsa_reserve_vcc 1
		.amdhsa_reserve_flat_scratch 0
		.amdhsa_float_round_mode_32 0
		.amdhsa_float_round_mode_16_64 0
		.amdhsa_float_denorm_mode_32 3
		.amdhsa_float_denorm_mode_16_64 3
		.amdhsa_dx10_clamp 1
		.amdhsa_ieee_mode 1
		.amdhsa_fp16_overflow 0
		.amdhsa_exception_fp_ieee_invalid_op 0
		.amdhsa_exception_fp_denorm_src 0
		.amdhsa_exception_fp_ieee_div_zero 0
		.amdhsa_exception_fp_ieee_overflow 0
		.amdhsa_exception_fp_ieee_underflow 0
		.amdhsa_exception_fp_ieee_inexact 0
		.amdhsa_exception_int_div_zero 0
	.end_amdhsa_kernel
	.text
.Lfunc_end2:
	.size	_Z23featureExtractionKernelPfPjiiP6__half, .Lfunc_end2-_Z23featureExtractionKernelPfPjiiP6__half
                                        ; -- End function
	.set _Z23featureExtractionKernelPfPjiiP6__half.num_vgpr, 14
	.set _Z23featureExtractionKernelPfPjiiP6__half.num_agpr, 0
	.set _Z23featureExtractionKernelPfPjiiP6__half.numbered_sgpr, 13
	.set _Z23featureExtractionKernelPfPjiiP6__half.num_named_barrier, 0
	.set _Z23featureExtractionKernelPfPjiiP6__half.private_seg_size, 0
	.set _Z23featureExtractionKernelPfPjiiP6__half.uses_vcc, 1
	.set _Z23featureExtractionKernelPfPjiiP6__half.uses_flat_scratch, 0
	.set _Z23featureExtractionKernelPfPjiiP6__half.has_dyn_sized_stack, 0
	.set _Z23featureExtractionKernelPfPjiiP6__half.has_recursion, 0
	.set _Z23featureExtractionKernelPfPjiiP6__half.has_indirect_call, 0
	.section	.AMDGPU.csdata,"",@progbits
; Kernel info:
; codeLenInByte = 520
; TotalNumSgprs: 17
; NumVgprs: 14
; ScratchSize: 0
; MemoryBound: 0
; FloatMode: 240
; IeeeMode: 1
; LDSByteSize: 0 bytes/workgroup (compile time only)
; SGPRBlocks: 2
; VGPRBlocks: 3
; NumSGPRsForWavesPerEU: 17
; NumVGPRsForWavesPerEU: 14
; Occupancy: 10
; WaveLimiterHint : 0
; COMPUTE_PGM_RSRC2:SCRATCH_EN: 0
; COMPUTE_PGM_RSRC2:USER_SGPR: 6
; COMPUTE_PGM_RSRC2:TRAP_HANDLER: 0
; COMPUTE_PGM_RSRC2:TGID_X_EN: 1
; COMPUTE_PGM_RSRC2:TGID_Y_EN: 0
; COMPUTE_PGM_RSRC2:TGID_Z_EN: 0
; COMPUTE_PGM_RSRC2:TIDIG_COMP_CNT: 0
	.section	.AMDGPU.gpr_maximums,"",@progbits
	.set amdgpu.max_num_vgpr, 0
	.set amdgpu.max_num_agpr, 0
	.set amdgpu.max_num_sgpr, 0
	.section	.AMDGPU.csdata,"",@progbits
	.type	__hip_cuid_a43eaa8a60725617,@object ; @__hip_cuid_a43eaa8a60725617
	.section	.bss,"aw",@nobits
	.globl	__hip_cuid_a43eaa8a60725617
__hip_cuid_a43eaa8a60725617:
	.byte	0                               ; 0x0
	.size	__hip_cuid_a43eaa8a60725617, 1

	.ident	"AMD clang version 22.0.0git (https://github.com/RadeonOpenCompute/llvm-project roc-7.2.4 26084 f58b06dce1f9c15707c5f808fd002e18c2accf7e)"
	.section	".note.GNU-stack","",@progbits
	.addrsig
	.addrsig_sym __hip_cuid_a43eaa8a60725617
	.amdgpu_metadata
---
amdhsa.kernels:
  - .args:
      - .address_space:  global
        .offset:         0
        .size:           8
        .value_kind:     global_buffer
      - .offset:         8
        .size:           8
        .value_kind:     by_value
      - .offset:         16
        .size:           4
        .value_kind:     by_value
      - .offset:         20
        .size:           4
        .value_kind:     by_value
      - .offset:         24
        .size:           4
        .value_kind:     by_value
      - .offset:         28
        .size:           4
        .value_kind:     by_value
      - .offset:         32
        .size:           4
        .value_kind:     by_value
      - .offset:         36
        .size:           4
        .value_kind:     by_value
      - .offset:         40
        .size:           4
        .value_kind:     by_value
      - .offset:         44
        .size:           4
        .value_kind:     by_value
      - .offset:         48
        .size:           4
        .value_kind:     by_value
      - .offset:         52
        .size:           4
        .value_kind:     by_value
      - .offset:         56
        .size:           4
        .value_kind:     by_value
      - .offset:         60
        .size:           4
        .value_kind:     by_value
      - .offset:         64
        .size:           4
        .value_kind:     by_value
      - .address_space:  global
        .offset:         72
        .size:           8
        .value_kind:     global_buffer
      - .address_space:  global
        .offset:         80
        .size:           8
        .value_kind:     global_buffer
      - .offset:         88
        .size:           4
        .value_kind:     hidden_block_count_x
      - .offset:         92
        .size:           4
        .value_kind:     hidden_block_count_y
      - .offset:         96
        .size:           4
        .value_kind:     hidden_block_count_z
      - .offset:         100
        .size:           2
        .value_kind:     hidden_group_size_x
      - .offset:         102
        .size:           2
        .value_kind:     hidden_group_size_y
      - .offset:         104
        .size:           2
        .value_kind:     hidden_group_size_z
      - .offset:         106
        .size:           2
        .value_kind:     hidden_remainder_x
      - .offset:         108
        .size:           2
        .value_kind:     hidden_remainder_y
      - .offset:         110
        .size:           2
        .value_kind:     hidden_remainder_z
      - .offset:         128
        .size:           8
        .value_kind:     hidden_global_offset_x
      - .offset:         136
        .size:           8
        .value_kind:     hidden_global_offset_y
      - .offset:         144
        .size:           8
        .value_kind:     hidden_global_offset_z
      - .offset:         152
        .size:           2
        .value_kind:     hidden_grid_dims
    .group_segment_fixed_size: 0
    .kernarg_segment_align: 8
    .kernarg_segment_size: 344
    .language:       OpenCL C
    .language_version:
      - 2
      - 0
    .max_flat_workgroup_size: 1024
    .name:           _Z15buildHashKernelPKfmfffffffffiiiiPjS1_
    .private_segment_fixed_size: 0
    .sgpr_count:     28
    .sgpr_spill_count: 0
    .symbol:         _Z15buildHashKernelPKfmfffffffffiiiiPjS1_.kd
    .uniform_work_group_size: 1
    .uses_dynamic_stack: false
    .vgpr_count:     10
    .vgpr_spill_count: 0
    .wavefront_size: 64
  - .args:
      - .address_space:  global
        .offset:         0
        .size:           8
        .value_kind:     global_buffer
      - .offset:         8
        .size:           8
        .value_kind:     by_value
      - .offset:         16
        .size:           4
        .value_kind:     by_value
      - .offset:         20
        .size:           4
        .value_kind:     by_value
      - .offset:         24
        .size:           4
        .value_kind:     by_value
      - .offset:         28
        .size:           4
        .value_kind:     by_value
      - .offset:         32
        .size:           4
        .value_kind:     by_value
      - .offset:         36
        .size:           4
        .value_kind:     by_value
      - .offset:         40
        .size:           4
        .value_kind:     by_value
      - .offset:         44
        .size:           4
        .value_kind:     by_value
      - .offset:         48
        .size:           4
        .value_kind:     by_value
      - .offset:         52
        .size:           4
        .value_kind:     by_value
      - .offset:         56
        .size:           4
        .value_kind:     by_value
      - .offset:         60
        .size:           4
        .value_kind:     by_value
      - .offset:         64
        .size:           4
        .value_kind:     by_value
      - .offset:         68
        .size:           4
        .value_kind:     by_value
      - .offset:         72
        .size:           4
        .value_kind:     by_value
      - .address_space:  global
        .offset:         80
        .size:           8
        .value_kind:     global_buffer
      - .address_space:  global
        .offset:         88
        .size:           8
        .value_kind:     global_buffer
      - .address_space:  global
        .offset:         96
        .size:           8
        .value_kind:     global_buffer
      - .address_space:  global
        .offset:         104
        .size:           8
        .value_kind:     global_buffer
      - .offset:         112
        .size:           4
        .value_kind:     hidden_block_count_x
      - .offset:         116
        .size:           4
        .value_kind:     hidden_block_count_y
      - .offset:         120
        .size:           4
        .value_kind:     hidden_block_count_z
      - .offset:         124
        .size:           2
        .value_kind:     hidden_group_size_x
      - .offset:         126
        .size:           2
        .value_kind:     hidden_group_size_y
      - .offset:         128
        .size:           2
        .value_kind:     hidden_group_size_z
      - .offset:         130
        .size:           2
        .value_kind:     hidden_remainder_x
      - .offset:         132
        .size:           2
        .value_kind:     hidden_remainder_y
      - .offset:         134
        .size:           2
        .value_kind:     hidden_remainder_z
      - .offset:         152
        .size:           8
        .value_kind:     hidden_global_offset_x
      - .offset:         160
        .size:           8
        .value_kind:     hidden_global_offset_y
      - .offset:         168
        .size:           8
        .value_kind:     hidden_global_offset_z
      - .offset:         176
        .size:           2
        .value_kind:     hidden_grid_dims
    .group_segment_fixed_size: 0
    .kernarg_segment_align: 8
    .kernarg_segment_size: 368
    .language:       OpenCL C
    .language_version:
      - 2
      - 0
    .max_flat_workgroup_size: 1024
    .name:           _Z18voxelizationKernelPKfmfffffffffiiiiiiPjS1_PfS1_
    .private_segment_fixed_size: 0
    .sgpr_count:     34
    .sgpr_spill_count: 0
    .symbol:         _Z18voxelizationKernelPKfmfffffffffiiiiiiPjS1_PfS1_.kd
    .uniform_work_group_size: 1
    .uses_dynamic_stack: false
    .vgpr_count:     14
    .vgpr_spill_count: 0
    .wavefront_size: 64
  - .args:
      - .address_space:  global
        .offset:         0
        .size:           8
        .value_kind:     global_buffer
      - .address_space:  global
        .offset:         8
        .size:           8
        .value_kind:     global_buffer
      - .offset:         16
        .size:           4
        .value_kind:     by_value
      - .offset:         20
        .size:           4
        .value_kind:     by_value
      - .address_space:  global
        .offset:         24
        .size:           8
        .value_kind:     global_buffer
      - .offset:         32
        .size:           4
        .value_kind:     hidden_block_count_x
      - .offset:         36
        .size:           4
        .value_kind:     hidden_block_count_y
      - .offset:         40
        .size:           4
        .value_kind:     hidden_block_count_z
      - .offset:         44
        .size:           2
        .value_kind:     hidden_group_size_x
      - .offset:         46
        .size:           2
        .value_kind:     hidden_group_size_y
      - .offset:         48
        .size:           2
        .value_kind:     hidden_group_size_z
      - .offset:         50
        .size:           2
        .value_kind:     hidden_remainder_x
      - .offset:         52
        .size:           2
        .value_kind:     hidden_remainder_y
      - .offset:         54
        .size:           2
        .value_kind:     hidden_remainder_z
      - .offset:         72
        .size:           8
        .value_kind:     hidden_global_offset_x
      - .offset:         80
        .size:           8
        .value_kind:     hidden_global_offset_y
      - .offset:         88
        .size:           8
        .value_kind:     hidden_global_offset_z
      - .offset:         96
        .size:           2
        .value_kind:     hidden_grid_dims
    .group_segment_fixed_size: 0
    .kernarg_segment_align: 8
    .kernarg_segment_size: 288
    .language:       OpenCL C
    .language_version:
      - 2
      - 0
    .max_flat_workgroup_size: 1024
    .name:           _Z23featureExtractionKernelPfPjiiP6__half
    .private_segment_fixed_size: 0
    .sgpr_count:     17
    .sgpr_spill_count: 0
    .symbol:         _Z23featureExtractionKernelPfPjiiP6__half.kd
    .uniform_work_group_size: 1
    .uses_dynamic_stack: false
    .vgpr_count:     14
    .vgpr_spill_count: 0
    .wavefront_size: 64
amdhsa.target:   amdgcn-amd-amdhsa--gfx906
amdhsa.version:
  - 1
  - 2
...

	.end_amdgpu_metadata
